;; amdgpu-corpus repo=ROCm/rocFFT kind=compiled arch=gfx1201 opt=O3
	.text
	.amdgcn_target "amdgcn-amd-amdhsa--gfx1201"
	.amdhsa_code_object_version 6
	.protected	bluestein_single_fwd_len3_dim1_dp_op_CI_CI ; -- Begin function bluestein_single_fwd_len3_dim1_dp_op_CI_CI
	.globl	bluestein_single_fwd_len3_dim1_dp_op_CI_CI
	.p2align	8
	.type	bluestein_single_fwd_len3_dim1_dp_op_CI_CI,@function
bluestein_single_fwd_len3_dim1_dp_op_CI_CI: ; @bluestein_single_fwd_len3_dim1_dp_op_CI_CI
; %bb.0:
	s_load_b128 s[4:7], s[0:1], 0x28
	v_lshl_or_b32 v1, ttmp9, 6, v0
	v_mov_b32_e32 v2, 0
	s_mov_b32 s2, exec_lo
	s_wait_kmcnt 0x0
	s_delay_alu instid0(VALU_DEP_1)
	v_cmpx_gt_u64_e64 s[4:5], v[1:2]
	s_cbranch_execz .LBB0_2
; %bb.1:
	s_load_b128 s[20:23], s[0:1], 0x18
	v_mul_u32_u24_e32 v0, 48, v0
	s_mov_b32 s34, 0xe8584caa
	s_mov_b32 s35, 0x3febb67a
	s_wait_kmcnt 0x0
	s_load_b128 s[8:11], s[20:21], 0x0
	s_clause 0x1
	s_load_b64 s[20:21], s[0:1], 0x0
	s_load_b64 s[0:1], s[0:1], 0x38
	s_wait_kmcnt 0x0
	v_mad_co_u64_u32 v[2:3], null, s10, v1, 0
	s_lshl_b64 s[2:3], s[8:9], 4
	s_lshl_b64 s[4:5], s[8:9], 5
	s_delay_alu instid0(VALU_DEP_1) | instskip(NEXT) | instid1(VALU_DEP_1)
	v_mad_co_u64_u32 v[3:4], null, s11, v1, v[3:4]
	v_lshlrev_b64_e32 v[2:3], 4, v[2:3]
	s_delay_alu instid0(VALU_DEP_1) | instskip(NEXT) | instid1(VALU_DEP_2)
	v_add_co_u32 v2, vcc_lo, s6, v2
	v_add_co_ci_u32_e32 v3, vcc_lo, s7, v3, vcc_lo
	s_delay_alu instid0(VALU_DEP_2) | instskip(SKIP_1) | instid1(VALU_DEP_2)
	v_add_co_u32 v6, vcc_lo, v2, s2
	s_wait_alu 0xfffd
	v_add_co_ci_u32_e32 v7, vcc_lo, s3, v3, vcc_lo
	s_wait_alu 0xfffe
	v_add_co_u32 v10, vcc_lo, v2, s4
	s_wait_alu 0xfffd
	v_add_co_ci_u32_e32 v11, vcc_lo, s5, v3, vcc_lo
	s_clause 0x2
	global_load_b128 v[2:5], v[2:3], off
	global_load_b128 v[6:9], v[6:7], off
	;; [unrolled: 1-line block ×3, first 2 shown]
	s_load_b512 s[4:19], s[20:21], 0x0
	s_load_b128 s[28:31], s[22:23], 0x0
	s_mov_b32 s3, 0xbfebb67a
	s_mov_b32 s2, s34
	s_wait_loadcnt 0x2
	s_wait_kmcnt 0x0
	v_mul_f64_e32 v[14:15], s[6:7], v[4:5]
	v_mul_f64_e32 v[16:17], s[6:7], v[2:3]
	s_wait_loadcnt 0x1
	v_mul_f64_e32 v[18:19], s[10:11], v[8:9]
	v_mul_f64_e32 v[20:21], s[10:11], v[6:7]
	s_wait_loadcnt 0x0
	v_mul_f64_e32 v[22:23], s[14:15], v[12:13]
	v_mul_f64_e32 v[24:25], s[14:15], v[10:11]
	v_fma_f64 v[2:3], v[2:3], s[4:5], v[14:15]
	v_fma_f64 v[4:5], v[4:5], s[4:5], -v[16:17]
	v_fma_f64 v[6:7], v[6:7], s[8:9], v[18:19]
	v_fma_f64 v[8:9], v[8:9], s[8:9], -v[20:21]
	;; [unrolled: 2-line block ×3, first 2 shown]
	ds_store_b128 v0, v[2:5]
	ds_store_b128 v0, v[6:9] offset:16
	ds_store_b128 v0, v[10:13] offset:32
	global_wb scope:SCOPE_SE
	s_wait_dscnt 0x0
	s_barrier_signal -1
	s_barrier_wait -1
	global_inv scope:SCOPE_SE
	ds_load_b128 v[2:5], v0 offset:16
	ds_load_b128 v[6:9], v0 offset:32
	ds_load_b128 v[10:13], v0
	s_wait_dscnt 0x1
	v_add_f64_e32 v[14:15], v[2:3], v[6:7]
	v_add_f64_e32 v[16:17], v[4:5], v[8:9]
	s_wait_dscnt 0x0
	v_add_f64_e32 v[18:19], v[10:11], v[2:3]
	v_add_f64_e64 v[20:21], v[4:5], -v[8:9]
	v_add_f64_e32 v[4:5], v[12:13], v[4:5]
	v_fma_f64 v[10:11], v[14:15], -0.5, v[10:11]
	v_add_f64_e64 v[14:15], v[2:3], -v[6:7]
	v_fma_f64 v[12:13], v[16:17], -0.5, v[12:13]
	v_add_f64_e32 v[2:3], v[18:19], v[6:7]
	v_add_f64_e32 v[4:5], v[4:5], v[8:9]
	v_fma_f64 v[6:7], v[20:21], s[34:35], v[10:11]
	s_wait_alu 0xfffe
	v_fma_f64 v[10:11], v[20:21], s[2:3], v[10:11]
	v_fma_f64 v[8:9], v[14:15], s[2:3], v[12:13]
	;; [unrolled: 1-line block ×3, first 2 shown]
	ds_store_b128 v0, v[2:5]
	ds_store_b128 v0, v[6:9] offset:16
	ds_store_b128 v0, v[10:13] offset:32
	global_wb scope:SCOPE_SE
	s_wait_dscnt 0x0
	s_barrier_signal -1
	s_barrier_wait -1
	global_inv scope:SCOPE_SE
	ds_load_b128 v[2:5], v0
	ds_load_b128 v[6:9], v0 offset:16
	s_load_b256 s[20:27], s[20:21], 0x40
	ds_load_b128 v[10:13], v0 offset:32
	s_wait_dscnt 0x2
	v_mul_f64_e32 v[14:15], s[18:19], v[4:5]
	v_mul_f64_e32 v[16:17], s[18:19], v[2:3]
	s_wait_dscnt 0x1
	s_wait_kmcnt 0x0
	v_mul_f64_e32 v[18:19], s[22:23], v[8:9]
	v_mul_f64_e32 v[20:21], s[22:23], v[6:7]
	s_wait_dscnt 0x0
	v_mul_f64_e32 v[22:23], s[26:27], v[12:13]
	v_mul_f64_e32 v[24:25], s[26:27], v[10:11]
	v_fma_f64 v[2:3], v[2:3], s[16:17], -v[14:15]
	v_fma_f64 v[4:5], v[4:5], s[16:17], v[16:17]
	v_fma_f64 v[6:7], v[6:7], s[20:21], -v[18:19]
	v_fma_f64 v[8:9], v[8:9], s[20:21], v[20:21]
	;; [unrolled: 2-line block ×3, first 2 shown]
	ds_store_b128 v0, v[2:5]
	ds_store_b128 v0, v[6:9] offset:16
	ds_store_b128 v0, v[10:13] offset:32
	global_wb scope:SCOPE_SE
	s_wait_dscnt 0x0
	s_barrier_signal -1
	s_barrier_wait -1
	global_inv scope:SCOPE_SE
	ds_load_b128 v[2:5], v0 offset:16
	ds_load_b128 v[6:9], v0 offset:32
	ds_load_b128 v[10:13], v0
	s_wait_dscnt 0x1
	v_add_f64_e32 v[14:15], v[2:3], v[6:7]
	v_add_f64_e32 v[16:17], v[4:5], v[8:9]
	s_wait_dscnt 0x0
	v_add_f64_e32 v[18:19], v[10:11], v[2:3]
	v_add_f64_e64 v[20:21], v[4:5], -v[8:9]
	v_add_f64_e32 v[4:5], v[12:13], v[4:5]
	v_fma_f64 v[10:11], v[14:15], -0.5, v[10:11]
	v_add_f64_e64 v[14:15], v[2:3], -v[6:7]
	v_fma_f64 v[12:13], v[16:17], -0.5, v[12:13]
	v_add_f64_e32 v[2:3], v[18:19], v[6:7]
	v_add_f64_e32 v[4:5], v[4:5], v[8:9]
	v_fma_f64 v[6:7], v[20:21], s[2:3], v[10:11]
	v_fma_f64 v[10:11], v[20:21], s[34:35], v[10:11]
	v_fma_f64 v[8:9], v[14:15], s[34:35], v[12:13]
	v_fma_f64 v[12:13], v[14:15], s[2:3], v[12:13]
	s_mov_b32 s2, 0x55555555
	s_mov_b32 s3, 0x3fd55555
	ds_store_b128 v0, v[2:5]
	ds_store_b128 v0, v[6:9] offset:16
	ds_store_b128 v0, v[10:13] offset:32
	global_wb scope:SCOPE_SE
	s_wait_dscnt 0x0
	s_barrier_signal -1
	s_barrier_wait -1
	global_inv scope:SCOPE_SE
	ds_load_b128 v[2:5], v0
	ds_load_b128 v[6:9], v0 offset:16
	ds_load_b128 v[10:13], v0 offset:32
	s_wait_dscnt 0x2
	v_mul_f64_e32 v[14:15], s[6:7], v[4:5]
	v_mul_f64_e32 v[16:17], s[6:7], v[2:3]
	s_wait_dscnt 0x1
	v_mul_f64_e32 v[18:19], s[10:11], v[8:9]
	v_mul_f64_e32 v[20:21], s[10:11], v[6:7]
	;; [unrolled: 3-line block ×3, first 2 shown]
	v_fma_f64 v[2:3], s[4:5], v[2:3], v[14:15]
	v_fma_f64 v[4:5], s[4:5], v[4:5], -v[16:17]
	v_fma_f64 v[6:7], s[8:9], v[6:7], v[18:19]
	v_fma_f64 v[8:9], s[8:9], v[8:9], -v[20:21]
	;; [unrolled: 2-line block ×3, first 2 shown]
	v_mad_co_u64_u32 v[14:15], null, s30, v1, 0
	s_delay_alu instid0(VALU_DEP_1) | instskip(NEXT) | instid1(VALU_DEP_1)
	v_mov_b32_e32 v0, v15
	v_mad_co_u64_u32 v[0:1], null, s31, v1, v[0:1]
	s_delay_alu instid0(VALU_DEP_1) | instskip(NEXT) | instid1(VALU_DEP_1)
	v_mov_b32_e32 v15, v0
	v_lshlrev_b64_e32 v[0:1], 4, v[14:15]
	s_wait_alu 0xfffe
	v_mul_f64_e32 v[2:3], s[2:3], v[2:3]
	v_mul_f64_e32 v[4:5], s[2:3], v[4:5]
	;; [unrolled: 1-line block ×6, first 2 shown]
	v_add_co_u32 v0, vcc_lo, s0, v0
	s_wait_alu 0xfffd
	v_add_co_ci_u32_e32 v1, vcc_lo, s1, v1, vcc_lo
	s_lshl_b64 s[2:3], s[28:29], 4
	s_lshl_b64 s[0:1], s[28:29], 5
	s_wait_alu 0xfffe
	v_add_co_u32 v14, vcc_lo, v0, s2
	s_wait_alu 0xfffd
	v_add_co_ci_u32_e32 v15, vcc_lo, s3, v1, vcc_lo
	v_add_co_u32 v16, vcc_lo, v0, s0
	s_wait_alu 0xfffd
	v_add_co_ci_u32_e32 v17, vcc_lo, s1, v1, vcc_lo
	s_clause 0x2
	global_store_b128 v[0:1], v[2:5], off
	global_store_b128 v[14:15], v[6:9], off
	;; [unrolled: 1-line block ×3, first 2 shown]
.LBB0_2:
	s_nop 0
	s_sendmsg sendmsg(MSG_DEALLOC_VGPRS)
	s_endpgm
	.section	.rodata,"a",@progbits
	.p2align	6, 0x0
	.amdhsa_kernel bluestein_single_fwd_len3_dim1_dp_op_CI_CI
		.amdhsa_group_segment_fixed_size 3072
		.amdhsa_private_segment_fixed_size 0
		.amdhsa_kernarg_size 104
		.amdhsa_user_sgpr_count 2
		.amdhsa_user_sgpr_dispatch_ptr 0
		.amdhsa_user_sgpr_queue_ptr 0
		.amdhsa_user_sgpr_kernarg_segment_ptr 1
		.amdhsa_user_sgpr_dispatch_id 0
		.amdhsa_user_sgpr_private_segment_size 0
		.amdhsa_wavefront_size32 1
		.amdhsa_uses_dynamic_stack 0
		.amdhsa_enable_private_segment 0
		.amdhsa_system_sgpr_workgroup_id_x 1
		.amdhsa_system_sgpr_workgroup_id_y 0
		.amdhsa_system_sgpr_workgroup_id_z 0
		.amdhsa_system_sgpr_workgroup_info 0
		.amdhsa_system_vgpr_workitem_id 0
		.amdhsa_next_free_vgpr 26
		.amdhsa_next_free_sgpr 36
		.amdhsa_reserve_vcc 1
		.amdhsa_float_round_mode_32 0
		.amdhsa_float_round_mode_16_64 0
		.amdhsa_float_denorm_mode_32 3
		.amdhsa_float_denorm_mode_16_64 3
		.amdhsa_fp16_overflow 0
		.amdhsa_workgroup_processor_mode 1
		.amdhsa_memory_ordered 1
		.amdhsa_forward_progress 0
		.amdhsa_round_robin_scheduling 0
		.amdhsa_exception_fp_ieee_invalid_op 0
		.amdhsa_exception_fp_denorm_src 0
		.amdhsa_exception_fp_ieee_div_zero 0
		.amdhsa_exception_fp_ieee_overflow 0
		.amdhsa_exception_fp_ieee_underflow 0
		.amdhsa_exception_fp_ieee_inexact 0
		.amdhsa_exception_int_div_zero 0
	.end_amdhsa_kernel
	.text
.Lfunc_end0:
	.size	bluestein_single_fwd_len3_dim1_dp_op_CI_CI, .Lfunc_end0-bluestein_single_fwd_len3_dim1_dp_op_CI_CI
                                        ; -- End function
	.section	.AMDGPU.csdata,"",@progbits
; Kernel info:
; codeLenInByte = 1256
; NumSgprs: 38
; NumVgprs: 26
; ScratchSize: 0
; MemoryBound: 0
; FloatMode: 240
; IeeeMode: 1
; LDSByteSize: 3072 bytes/workgroup (compile time only)
; SGPRBlocks: 4
; VGPRBlocks: 3
; NumSGPRsForWavesPerEU: 38
; NumVGPRsForWavesPerEU: 26
; Occupancy: 16
; WaveLimiterHint : 1
; COMPUTE_PGM_RSRC2:SCRATCH_EN: 0
; COMPUTE_PGM_RSRC2:USER_SGPR: 2
; COMPUTE_PGM_RSRC2:TRAP_HANDLER: 0
; COMPUTE_PGM_RSRC2:TGID_X_EN: 1
; COMPUTE_PGM_RSRC2:TGID_Y_EN: 0
; COMPUTE_PGM_RSRC2:TGID_Z_EN: 0
; COMPUTE_PGM_RSRC2:TIDIG_COMP_CNT: 0
	.text
	.p2alignl 7, 3214868480
	.fill 96, 4, 3214868480
	.type	__hip_cuid_8e957d30f09eb6fc,@object ; @__hip_cuid_8e957d30f09eb6fc
	.section	.bss,"aw",@nobits
	.globl	__hip_cuid_8e957d30f09eb6fc
__hip_cuid_8e957d30f09eb6fc:
	.byte	0                               ; 0x0
	.size	__hip_cuid_8e957d30f09eb6fc, 1

	.ident	"AMD clang version 19.0.0git (https://github.com/RadeonOpenCompute/llvm-project roc-6.4.0 25133 c7fe45cf4b819c5991fe208aaa96edf142730f1d)"
	.section	".note.GNU-stack","",@progbits
	.addrsig
	.addrsig_sym __hip_cuid_8e957d30f09eb6fc
	.amdgpu_metadata
---
amdhsa.kernels:
  - .args:
      - .actual_access:  read_only
        .address_space:  global
        .offset:         0
        .size:           8
        .value_kind:     global_buffer
      - .actual_access:  read_only
        .address_space:  global
        .offset:         8
        .size:           8
        .value_kind:     global_buffer
      - .actual_access:  read_only
        .address_space:  global
        .offset:         16
        .size:           8
        .value_kind:     global_buffer
      - .actual_access:  read_only
        .address_space:  global
        .offset:         24
        .size:           8
        .value_kind:     global_buffer
      - .actual_access:  read_only
        .address_space:  global
        .offset:         32
        .size:           8
        .value_kind:     global_buffer
      - .offset:         40
        .size:           8
        .value_kind:     by_value
      - .address_space:  global
        .offset:         48
        .size:           8
        .value_kind:     global_buffer
      - .address_space:  global
        .offset:         56
        .size:           8
        .value_kind:     global_buffer
      - .address_space:  global
        .offset:         64
        .size:           8
        .value_kind:     global_buffer
      - .address_space:  global
        .offset:         72
        .size:           8
        .value_kind:     global_buffer
      - .offset:         80
        .size:           4
        .value_kind:     by_value
      - .address_space:  global
        .offset:         88
        .size:           8
        .value_kind:     global_buffer
      - .address_space:  global
        .offset:         96
        .size:           8
        .value_kind:     global_buffer
    .group_segment_fixed_size: 3072
    .kernarg_segment_align: 8
    .kernarg_segment_size: 104
    .language:       OpenCL C
    .language_version:
      - 2
      - 0
    .max_flat_workgroup_size: 64
    .name:           bluestein_single_fwd_len3_dim1_dp_op_CI_CI
    .private_segment_fixed_size: 0
    .sgpr_count:     38
    .sgpr_spill_count: 0
    .symbol:         bluestein_single_fwd_len3_dim1_dp_op_CI_CI.kd
    .uniform_work_group_size: 1
    .uses_dynamic_stack: false
    .vgpr_count:     26
    .vgpr_spill_count: 0
    .wavefront_size: 32
    .workgroup_processor_mode: 1
amdhsa.target:   amdgcn-amd-amdhsa--gfx1201
amdhsa.version:
  - 1
  - 2
...

	.end_amdgpu_metadata
